;; amdgpu-corpus repo=ROCm/rocFFT kind=compiled arch=gfx1030 opt=O3
	.text
	.amdgcn_target "amdgcn-amd-amdhsa--gfx1030"
	.amdhsa_code_object_version 6
	.protected	fft_rtc_back_len540_factors_3_10_6_3_wgs_216_tpt_54_halfLds_half_ip_CI_sbrr_dirReg ; -- Begin function fft_rtc_back_len540_factors_3_10_6_3_wgs_216_tpt_54_halfLds_half_ip_CI_sbrr_dirReg
	.globl	fft_rtc_back_len540_factors_3_10_6_3_wgs_216_tpt_54_halfLds_half_ip_CI_sbrr_dirReg
	.p2align	8
	.type	fft_rtc_back_len540_factors_3_10_6_3_wgs_216_tpt_54_halfLds_half_ip_CI_sbrr_dirReg,@function
fft_rtc_back_len540_factors_3_10_6_3_wgs_216_tpt_54_halfLds_half_ip_CI_sbrr_dirReg: ; @fft_rtc_back_len540_factors_3_10_6_3_wgs_216_tpt_54_halfLds_half_ip_CI_sbrr_dirReg
; %bb.0:
	s_clause 0x2
	s_load_dwordx2 s[2:3], s[4:5], 0x18
	s_load_dwordx4 s[8:11], s[4:5], 0x0
	s_load_dwordx2 s[14:15], s[4:5], 0x50
	v_mul_u32_u24_e32 v1, 0x4be, v0
	v_mov_b32_e32 v3, 0
	v_lshrrev_b32_e32 v13, 16, v1
	v_mov_b32_e32 v1, 0
	v_mov_b32_e32 v6, v3
	v_mov_b32_e32 v2, 0
	v_lshl_add_u32 v5, s6, 2, v13
	s_waitcnt lgkmcnt(0)
	s_load_dwordx2 s[12:13], s[2:3], 0x0
	v_cmp_lt_u64_e64 s0, s[10:11], 2
	s_and_b32 vcc_lo, exec_lo, s0
	s_cbranch_vccnz .LBB0_8
; %bb.1:
	s_load_dwordx2 s[0:1], s[4:5], 0x10
	v_mov_b32_e32 v1, 0
	s_add_u32 s6, s2, 8
	v_mov_b32_e32 v2, 0
	s_addc_u32 s7, s3, 0
	s_mov_b64 s[18:19], 1
	s_waitcnt lgkmcnt(0)
	s_add_u32 s16, s0, 8
	s_addc_u32 s17, s1, 0
.LBB0_2:                                ; =>This Inner Loop Header: Depth=1
	s_load_dwordx2 s[20:21], s[16:17], 0x0
                                        ; implicit-def: $vgpr7_vgpr8
	s_mov_b32 s0, exec_lo
	s_waitcnt lgkmcnt(0)
	v_or_b32_e32 v4, s21, v6
	v_cmpx_ne_u64_e32 0, v[3:4]
	s_xor_b32 s1, exec_lo, s0
	s_cbranch_execz .LBB0_4
; %bb.3:                                ;   in Loop: Header=BB0_2 Depth=1
	v_cvt_f32_u32_e32 v4, s20
	v_cvt_f32_u32_e32 v7, s21
	s_sub_u32 s0, 0, s20
	s_subb_u32 s22, 0, s21
	v_fmac_f32_e32 v4, 0x4f800000, v7
	v_rcp_f32_e32 v4, v4
	v_mul_f32_e32 v4, 0x5f7ffffc, v4
	v_mul_f32_e32 v7, 0x2f800000, v4
	v_trunc_f32_e32 v7, v7
	v_fmac_f32_e32 v4, 0xcf800000, v7
	v_cvt_u32_f32_e32 v7, v7
	v_cvt_u32_f32_e32 v4, v4
	v_mul_lo_u32 v8, s0, v7
	v_mul_hi_u32 v9, s0, v4
	v_mul_lo_u32 v10, s22, v4
	v_add_nc_u32_e32 v8, v9, v8
	v_mul_lo_u32 v9, s0, v4
	v_add_nc_u32_e32 v8, v8, v10
	v_mul_hi_u32 v10, v4, v9
	v_mul_lo_u32 v11, v4, v8
	v_mul_hi_u32 v12, v4, v8
	v_mul_hi_u32 v14, v7, v9
	v_mul_lo_u32 v9, v7, v9
	v_mul_hi_u32 v15, v7, v8
	v_mul_lo_u32 v8, v7, v8
	v_add_co_u32 v10, vcc_lo, v10, v11
	v_add_co_ci_u32_e32 v11, vcc_lo, 0, v12, vcc_lo
	v_add_co_u32 v9, vcc_lo, v10, v9
	v_add_co_ci_u32_e32 v9, vcc_lo, v11, v14, vcc_lo
	v_add_co_ci_u32_e32 v10, vcc_lo, 0, v15, vcc_lo
	v_add_co_u32 v8, vcc_lo, v9, v8
	v_add_co_ci_u32_e32 v9, vcc_lo, 0, v10, vcc_lo
	v_add_co_u32 v4, vcc_lo, v4, v8
	v_add_co_ci_u32_e32 v7, vcc_lo, v7, v9, vcc_lo
	v_mul_hi_u32 v8, s0, v4
	v_mul_lo_u32 v10, s22, v4
	v_mul_lo_u32 v9, s0, v7
	v_add_nc_u32_e32 v8, v8, v9
	v_mul_lo_u32 v9, s0, v4
	v_add_nc_u32_e32 v8, v8, v10
	v_mul_hi_u32 v10, v4, v9
	v_mul_lo_u32 v11, v4, v8
	v_mul_hi_u32 v12, v4, v8
	v_mul_hi_u32 v14, v7, v9
	v_mul_lo_u32 v9, v7, v9
	v_mul_hi_u32 v15, v7, v8
	v_mul_lo_u32 v8, v7, v8
	v_add_co_u32 v10, vcc_lo, v10, v11
	v_add_co_ci_u32_e32 v11, vcc_lo, 0, v12, vcc_lo
	v_add_co_u32 v9, vcc_lo, v10, v9
	v_add_co_ci_u32_e32 v9, vcc_lo, v11, v14, vcc_lo
	v_add_co_ci_u32_e32 v10, vcc_lo, 0, v15, vcc_lo
	v_add_co_u32 v8, vcc_lo, v9, v8
	v_add_co_ci_u32_e32 v9, vcc_lo, 0, v10, vcc_lo
	v_add_co_u32 v4, vcc_lo, v4, v8
	v_add_co_ci_u32_e32 v11, vcc_lo, v7, v9, vcc_lo
	v_mul_hi_u32 v14, v5, v4
	v_mad_u64_u32 v[9:10], null, v6, v4, 0
	v_mad_u64_u32 v[7:8], null, v5, v11, 0
	;; [unrolled: 1-line block ×3, first 2 shown]
	v_add_co_u32 v4, vcc_lo, v14, v7
	v_add_co_ci_u32_e32 v7, vcc_lo, 0, v8, vcc_lo
	v_add_co_u32 v4, vcc_lo, v4, v9
	v_add_co_ci_u32_e32 v4, vcc_lo, v7, v10, vcc_lo
	v_add_co_ci_u32_e32 v7, vcc_lo, 0, v12, vcc_lo
	v_add_co_u32 v4, vcc_lo, v4, v11
	v_add_co_ci_u32_e32 v9, vcc_lo, 0, v7, vcc_lo
	v_mul_lo_u32 v10, s21, v4
	v_mad_u64_u32 v[7:8], null, s20, v4, 0
	v_mul_lo_u32 v11, s20, v9
	v_sub_co_u32 v7, vcc_lo, v5, v7
	v_add3_u32 v8, v8, v11, v10
	v_sub_nc_u32_e32 v10, v6, v8
	v_subrev_co_ci_u32_e64 v10, s0, s21, v10, vcc_lo
	v_add_co_u32 v11, s0, v4, 2
	v_add_co_ci_u32_e64 v12, s0, 0, v9, s0
	v_sub_co_u32 v14, s0, v7, s20
	v_sub_co_ci_u32_e32 v8, vcc_lo, v6, v8, vcc_lo
	v_subrev_co_ci_u32_e64 v10, s0, 0, v10, s0
	v_cmp_le_u32_e32 vcc_lo, s20, v14
	v_cmp_eq_u32_e64 s0, s21, v8
	v_cndmask_b32_e64 v14, 0, -1, vcc_lo
	v_cmp_le_u32_e32 vcc_lo, s21, v10
	v_cndmask_b32_e64 v15, 0, -1, vcc_lo
	v_cmp_le_u32_e32 vcc_lo, s20, v7
	;; [unrolled: 2-line block ×3, first 2 shown]
	v_cndmask_b32_e64 v16, 0, -1, vcc_lo
	v_cmp_eq_u32_e32 vcc_lo, s21, v10
	v_cndmask_b32_e64 v7, v16, v7, s0
	v_cndmask_b32_e32 v10, v15, v14, vcc_lo
	v_add_co_u32 v14, vcc_lo, v4, 1
	v_add_co_ci_u32_e32 v15, vcc_lo, 0, v9, vcc_lo
	v_cmp_ne_u32_e32 vcc_lo, 0, v10
	v_cndmask_b32_e32 v8, v15, v12, vcc_lo
	v_cndmask_b32_e32 v10, v14, v11, vcc_lo
	v_cmp_ne_u32_e32 vcc_lo, 0, v7
	v_cndmask_b32_e32 v8, v9, v8, vcc_lo
	v_cndmask_b32_e32 v7, v4, v10, vcc_lo
.LBB0_4:                                ;   in Loop: Header=BB0_2 Depth=1
	s_andn2_saveexec_b32 s0, s1
	s_cbranch_execz .LBB0_6
; %bb.5:                                ;   in Loop: Header=BB0_2 Depth=1
	v_cvt_f32_u32_e32 v4, s20
	s_sub_i32 s1, 0, s20
	v_rcp_iflag_f32_e32 v4, v4
	v_mul_f32_e32 v4, 0x4f7ffffe, v4
	v_cvt_u32_f32_e32 v4, v4
	v_mul_lo_u32 v7, s1, v4
	v_mul_hi_u32 v7, v4, v7
	v_add_nc_u32_e32 v4, v4, v7
	v_mul_hi_u32 v4, v5, v4
	v_mul_lo_u32 v7, v4, s20
	v_add_nc_u32_e32 v8, 1, v4
	v_sub_nc_u32_e32 v7, v5, v7
	v_subrev_nc_u32_e32 v9, s20, v7
	v_cmp_le_u32_e32 vcc_lo, s20, v7
	v_cndmask_b32_e32 v7, v7, v9, vcc_lo
	v_cndmask_b32_e32 v4, v4, v8, vcc_lo
	v_cmp_le_u32_e32 vcc_lo, s20, v7
	v_add_nc_u32_e32 v8, 1, v4
	v_cndmask_b32_e32 v7, v4, v8, vcc_lo
	v_mov_b32_e32 v8, v3
.LBB0_6:                                ;   in Loop: Header=BB0_2 Depth=1
	s_or_b32 exec_lo, exec_lo, s0
	s_load_dwordx2 s[0:1], s[6:7], 0x0
	v_mul_lo_u32 v4, v8, s20
	v_mul_lo_u32 v11, v7, s21
	v_mad_u64_u32 v[9:10], null, v7, s20, 0
	s_add_u32 s18, s18, 1
	s_addc_u32 s19, s19, 0
	s_add_u32 s6, s6, 8
	s_addc_u32 s7, s7, 0
	s_add_u32 s16, s16, 8
	s_addc_u32 s17, s17, 0
	v_add3_u32 v4, v10, v11, v4
	v_sub_co_u32 v5, vcc_lo, v5, v9
	v_sub_co_ci_u32_e32 v4, vcc_lo, v6, v4, vcc_lo
	s_waitcnt lgkmcnt(0)
	v_mul_lo_u32 v6, s1, v5
	v_mul_lo_u32 v4, s0, v4
	v_mad_u64_u32 v[1:2], null, s0, v5, v[1:2]
	v_cmp_ge_u64_e64 s0, s[18:19], s[10:11]
	s_and_b32 vcc_lo, exec_lo, s0
	v_add3_u32 v2, v6, v2, v4
	s_cbranch_vccnz .LBB0_9
; %bb.7:                                ;   in Loop: Header=BB0_2 Depth=1
	v_mov_b32_e32 v5, v7
	v_mov_b32_e32 v6, v8
	s_branch .LBB0_2
.LBB0_8:
	v_mov_b32_e32 v8, v6
	v_mov_b32_e32 v7, v5
.LBB0_9:
	s_lshl_b64 s[0:1], s[10:11], 3
	v_mul_hi_u32 v3, 0x4bda130, v0
	s_add_u32 s0, s2, s0
	s_addc_u32 s1, s3, s1
	s_load_dwordx2 s[0:1], s[0:1], 0x0
	s_load_dwordx2 s[2:3], s[4:5], 0x20
	v_mul_u32_u24_e32 v3, 54, v3
	v_sub_nc_u32_e32 v6, v0, v3
                                        ; implicit-def: $vgpr3
	v_add_nc_u32_e32 v9, 54, v6
	s_waitcnt lgkmcnt(0)
	v_mul_lo_u32 v4, s0, v8
	v_mul_lo_u32 v5, s1, v7
	v_mad_u64_u32 v[1:2], null, s0, v7, v[1:2]
	v_cmp_gt_u64_e32 vcc_lo, s[2:3], v[7:8]
	v_cmp_le_u64_e64 s0, s[2:3], v[7:8]
	v_add_nc_u32_e32 v7, 0x6c, v6
	v_add3_u32 v2, v5, v2, v4
                                        ; implicit-def: $vgpr4
	s_and_saveexec_b32 s1, s0
	s_xor_b32 s0, exec_lo, s1
; %bb.10:
	v_add_nc_u32_e32 v3, 54, v6
	v_add_nc_u32_e32 v4, 0x6c, v6
; %bb.11:
	s_or_saveexec_b32 s1, s0
	v_lshlrev_b64 v[0:1], 2, v[1:2]
	v_add_nc_u32_e32 v11, 0xb4, v6
	v_add_nc_u32_e32 v12, 0x168, v6
	;; [unrolled: 1-line block ×4, first 2 shown]
                                        ; implicit-def: $vgpr22
                                        ; implicit-def: $vgpr23
                                        ; implicit-def: $vgpr25
                                        ; implicit-def: $vgpr17
                                        ; implicit-def: $vgpr24
                                        ; implicit-def: $vgpr29
                                        ; implicit-def: $vgpr38
                                        ; implicit-def: $vgpr14
                                        ; implicit-def: $vgpr30
                                        ; implicit-def: $vgpr2
                                        ; implicit-def: $vgpr33
                                        ; implicit-def: $vgpr26
                                        ; implicit-def: $vgpr31
                                        ; implicit-def: $vgpr15
                                        ; implicit-def: $vgpr34
                                        ; implicit-def: $vgpr16
                                        ; implicit-def: $vgpr36
                                        ; implicit-def: $vgpr27
                                        ; implicit-def: $vgpr32
                                        ; implicit-def: $vgpr20
                                        ; implicit-def: $vgpr35
                                        ; implicit-def: $vgpr21
                                        ; implicit-def: $vgpr37
                                        ; implicit-def: $vgpr28
	s_xor_b32 exec_lo, exec_lo, s1
	s_cbranch_execz .LBB0_15
; %bb.12:
	v_mad_u64_u32 v[14:15], null, s12, v6, 0
	v_mad_u64_u32 v[16:17], null, s12, v11, 0
	;; [unrolled: 1-line block ×4, first 2 shown]
	v_mov_b32_e32 v2, v15
	s_mov_b32 s2, exec_lo
	v_mov_b32_e32 v3, v17
	v_mov_b32_e32 v5, v19
	v_mad_u64_u32 v[20:21], null, s13, v6, v[2:3]
	v_mad_u64_u32 v[21:22], null, s12, v9, 0
	;; [unrolled: 1-line block ×3, first 2 shown]
	v_add_co_u32 v3, s0, s14, v0
	v_mov_b32_e32 v15, v20
	v_mad_u64_u32 v[19:20], null, s13, v12, v[5:6]
	v_add_nc_u32_e32 v5, 0x120, v6
	v_mov_b32_e32 v17, v2
	v_mov_b32_e32 v2, v22
	v_lshlrev_b64 v[14:15], 2, v[14:15]
	v_add_co_ci_u32_e64 v4, s0, s15, v1, s0
	v_lshlrev_b64 v[16:17], 2, v[16:17]
	v_mad_u64_u32 v[25:26], null, s13, v9, v[2:3]
	v_mov_b32_e32 v2, v24
	v_add_co_u32 v14, s0, v3, v14
	v_lshlrev_b64 v[18:19], 2, v[18:19]
	v_mad_u64_u32 v[30:31], null, s12, v5, 0
	v_mov_b32_e32 v22, v25
	v_mad_u64_u32 v[25:26], null, s12, v10, 0
	v_mad_u64_u32 v[27:28], null, s13, v8, v[2:3]
	;; [unrolled: 1-line block ×3, first 2 shown]
	v_add_co_ci_u32_e64 v15, s0, v4, v15, s0
	v_mov_b32_e32 v2, v26
	v_add_co_u32 v16, s0, v3, v16
	v_mov_b32_e32 v24, v27
	v_lshlrev_b64 v[20:21], 2, v[21:22]
	v_mad_u64_u32 v[26:27], null, s13, v10, v[2:3]
	v_mov_b32_e32 v2, v29
	v_add_nc_u32_e32 v27, 0x1d4, v6
	v_add_co_ci_u32_e64 v17, s0, v4, v17, s0
	v_add_co_u32 v18, s0, v3, v18
	v_mad_u64_u32 v[32:33], null, s13, v7, v[2:3]
	v_mad_u64_u32 v[33:34], null, s12, v27, 0
	v_add_co_ci_u32_e64 v19, s0, v4, v19, s0
	v_add_co_u32 v35, s0, v3, v20
	v_mov_b32_e32 v2, v31
	v_add_co_ci_u32_e64 v36, s0, v4, v21, s0
	v_lshlrev_b64 v[20:21], 2, v[23:24]
	v_mov_b32_e32 v29, v32
	v_mad_u64_u32 v[22:23], null, s13, v5, v[2:3]
	v_mov_b32_e32 v2, v34
	v_add_co_u32 v23, s0, v3, v20
	v_add_co_ci_u32_e64 v24, s0, v4, v21, s0
	v_lshlrev_b64 v[20:21], 2, v[25:26]
	v_mad_u64_u32 v[25:26], null, s13, v27, v[2:3]
	v_lshlrev_b64 v[26:27], 2, v[28:29]
	v_mov_b32_e32 v31, v22
                                        ; implicit-def: $vgpr22
	v_add_co_u32 v37, s0, v3, v20
	v_add_co_ci_u32_e64 v38, s0, v4, v21, s0
	v_mov_b32_e32 v34, v25
	v_lshlrev_b64 v[20:21], 2, v[30:31]
	v_add_co_u32 v25, s0, v3, v26
	v_add_co_ci_u32_e64 v26, s0, v4, v27, s0
	v_lshlrev_b64 v[27:28], 2, v[33:34]
	v_add_co_u32 v29, s0, v3, v20
	v_add_co_ci_u32_e64 v30, s0, v4, v21, s0
	v_add_co_u32 v31, s0, v3, v27
	v_add_co_ci_u32_e64 v32, s0, v4, v28, s0
	s_clause 0x8
	global_load_dword v28, v[14:15], off
	global_load_dword v21, v[16:17], off
	;; [unrolled: 1-line block ×9, first 2 shown]
                                        ; implicit-def: $vgpr29
                                        ; implicit-def: $vgpr24
                                        ; implicit-def: $vgpr17
                                        ; implicit-def: $vgpr25
                                        ; implicit-def: $vgpr23
	v_cmpx_gt_u32_e32 18, v6
	s_cbranch_execz .LBB0_14
; %bb.13:
	v_add_nc_u32_e32 v29, 0xa2, v6
	v_add_nc_u32_e32 v31, 0x156, v6
	;; [unrolled: 1-line block ×3, first 2 shown]
	v_mad_u64_u32 v[17:18], null, s12, v29, 0
	v_mad_u64_u32 v[22:23], null, s12, v31, 0
	v_mad_u64_u32 v[24:25], null, s12, v32, 0
	v_mov_b32_e32 v5, v18
	v_mov_b32_e32 v18, v23
	;; [unrolled: 1-line block ×3, first 2 shown]
	v_mad_u64_u32 v[29:30], null, s13, v29, v[5:6]
	v_mad_u64_u32 v[30:31], null, s13, v31, v[18:19]
	s_waitcnt vmcnt(6)
	v_mad_u64_u32 v[31:32], null, s13, v32, v[19:20]
	v_mov_b32_e32 v18, v29
	v_mov_b32_e32 v23, v30
	v_lshlrev_b64 v[17:18], 2, v[17:18]
	v_mov_b32_e32 v25, v31
	v_lshlrev_b64 v[22:23], 2, v[22:23]
	v_lshlrev_b64 v[24:25], 2, v[24:25]
	v_add_co_u32 v17, s0, v3, v17
	v_add_co_ci_u32_e64 v18, s0, v4, v18, s0
	v_add_co_u32 v22, s0, v3, v22
	v_add_co_ci_u32_e64 v23, s0, v4, v23, s0
	;; [unrolled: 2-line block ×3, first 2 shown]
	s_clause 0x2
	global_load_dword v29, v[17:18], off
	global_load_dword v17, v[22:23], off
	;; [unrolled: 1-line block ×3, first 2 shown]
	s_waitcnt vmcnt(2)
	v_lshrrev_b32_e32 v24, 16, v29
	s_waitcnt vmcnt(1)
	v_lshrrev_b32_e32 v25, 16, v17
	;; [unrolled: 2-line block ×3, first 2 shown]
.LBB0_14:
	s_or_b32 exec_lo, exec_lo, s2
	s_waitcnt vmcnt(8)
	v_lshrrev_b32_e32 v37, 16, v28
	s_waitcnt vmcnt(7)
	v_lshrrev_b32_e32 v35, 16, v21
	;; [unrolled: 2-line block ×9, first 2 shown]
	v_mov_b32_e32 v4, v7
	v_mov_b32_e32 v3, v9
.LBB0_15:
	s_or_b32 exec_lo, exec_lo, s1
	v_add_f16_e32 v5, v20, v21
	v_and_b32_e32 v13, 3, v13
	v_add_f16_e32 v18, v21, v28
	v_add_f16_e32 v39, v15, v16
	v_sub_f16_e32 v19, v35, v32
	v_fmac_f16_e32 v28, -0.5, v5
	v_add_f16_e32 v5, v16, v27
	v_mul_u32_u24_e32 v43, 0x21c, v13
	v_add_f16_e32 v41, v20, v18
	v_fmac_f16_e32 v27, -0.5, v39
	v_sub_f16_e32 v13, v34, v31
	v_add_f16_e32 v46, v15, v5
	v_add_f16_e32 v5, v2, v26
	;; [unrolled: 1-line block ×3, first 2 shown]
	v_fmamk_f16 v45, v19, 0xbaee, v28
	v_fmac_f16_e32 v28, 0x3aee, v19
	v_fmamk_f16 v47, v13, 0xbaee, v27
	v_add_f16_e32 v19, v23, v17
	v_fmac_f16_e32 v27, 0x3aee, v13
	v_add_f16_e32 v48, v14, v5
	v_fmac_f16_e32 v26, -0.5, v18
	v_sub_f16_e32 v13, v30, v38
	v_mad_u32_u24 v44, v6, 6, 0
	v_lshlrev_b32_e32 v5, 1, v43
	v_fma_f16 v18, -0.5, v19, v29
	v_sub_f16_e32 v40, v25, v22
	v_fmamk_f16 v49, v13, 0xbaee, v26
	v_fmac_f16_e32 v26, 0x3aee, v13
	v_mad_i32_i24 v13, v3, 6, 0
	v_add_nc_u32_e32 v39, v44, v5
	v_mad_i32_i24 v42, v4, 6, 0
	v_fmamk_f16 v19, v40, 0xbaee, v18
	v_fmac_f16_e32 v18, 0x3aee, v40
	v_add_nc_u32_e32 v40, v13, v5
	ds_write_b16 v39, v41
	ds_write_b16 v39, v45 offset:2
	ds_write_b16 v39, v28 offset:4
	v_add_nc_u32_e32 v41, v42, v5
	v_cmp_gt_u32_e64 s0, 18, v6
	ds_write_b16 v40, v46
	ds_write_b16 v40, v47 offset:2
	ds_write_b16 v40, v27 offset:4
	ds_write_b16 v41, v48
	ds_write_b16 v41, v49 offset:2
	ds_write_b16 v41, v26 offset:4
	s_and_saveexec_b32 s1, s0
	s_cbranch_execz .LBB0_17
; %bb.16:
	v_add_f16_e32 v26, v17, v29
	v_lshl_add_u32 v27, v43, 1, v44
	v_add_f16_e32 v26, v23, v26
	ds_write_b16 v27, v19 offset:974
	ds_write_b16 v27, v26 offset:972
	;; [unrolled: 1-line block ×3, first 2 shown]
.LBB0_17:
	s_or_b32 exec_lo, exec_lo, s1
	v_add_f16_e32 v26, v32, v35
	v_sub_f16_e32 v20, v21, v20
	v_add_f16_e32 v21, v31, v34
	v_sub_f16_e32 v43, v16, v15
	v_add_f16_e32 v15, v38, v30
	v_sub_f16_e32 v48, v2, v14
	v_lshlrev_b32_e32 v14, 2, v3
	v_add_f16_e32 v27, v35, v37
	v_fmac_f16_e32 v37, -0.5, v26
	v_add_f16_e32 v26, v34, v36
	v_fmac_f16_e32 v36, -0.5, v21
	;; [unrolled: 2-line block ×3, first 2 shown]
	v_lshlrev_b32_e32 v15, 2, v4
	v_lshlrev_b32_e32 v2, 1, v6
	v_add_f16_e32 v16, v22, v25
	v_sub_nc_u32_e32 v13, v13, v14
	v_sub_f16_e32 v49, v17, v23
	v_sub_nc_u32_e32 v14, v42, v15
	v_add3_u32 v17, 0, v5, v2
	v_fmamk_f16 v45, v20, 0x3aee, v37
	v_fmac_f16_e32 v37, 0xbaee, v20
	v_fma_f16 v20, -0.5, v16, v24
	v_add_nc_u32_e32 v16, v13, v5
	v_add_nc_u32_e32 v15, v14, v5
	v_add3_u32 v14, 0, v2, v5
	v_add_f16_e32 v44, v32, v27
	v_add_f16_e32 v46, v31, v26
	s_waitcnt lgkmcnt(0)
	s_barrier
	buffer_gl0_inv
	ds_read_u16 v23, v17
	ds_read_u16 v35, v16
	;; [unrolled: 1-line block ×3, first 2 shown]
	ds_read_u16 v32, v14 offset:324
	ds_read_u16 v31, v14 offset:432
	;; [unrolled: 1-line block ×7, first 2 shown]
	v_add_f16_e32 v38, v38, v21
	v_fmamk_f16 v21, v49, 0x3aee, v20
	v_fmac_f16_e32 v20, 0xbaee, v49
	v_add_nc_u32_e32 v13, 0xa2, v6
	v_fmamk_f16 v47, v43, 0x3aee, v36
	v_fmac_f16_e32 v36, 0xbaee, v43
	v_fmamk_f16 v42, v48, 0x3aee, v33
	v_fmac_f16_e32 v33, 0xbaee, v48
	s_waitcnt lgkmcnt(0)
	s_barrier
	buffer_gl0_inv
	ds_write_b16 v39, v44
	ds_write_b16 v39, v45 offset:2
	ds_write_b16 v39, v37 offset:4
	ds_write_b16 v40, v46
	ds_write_b16 v40, v47 offset:2
	ds_write_b16 v40, v36 offset:4
	;; [unrolled: 3-line block ×3, first 2 shown]
	s_and_saveexec_b32 s1, s0
	s_cbranch_execz .LBB0_19
; %bb.18:
	v_add_f16_e32 v24, v25, v24
	v_mul_u32_u24_e32 v25, 6, v13
	v_add_f16_e32 v22, v22, v24
	v_add3_u32 v24, 0, v25, v5
	ds_write_b16 v24, v22
	ds_write_b16 v24, v21 offset:2
	ds_write_b16 v24, v20 offset:4
.LBB0_19:
	s_or_b32 exec_lo, exec_lo, s1
	v_and_b32_e32 v22, 0xff, v6
	v_mov_b32_e32 v25, 9
	s_waitcnt lgkmcnt(0)
	s_barrier
	buffer_gl0_inv
	v_mul_lo_u16 v22, 0xab, v22
	v_mov_b32_e32 v33, 1
	v_cmp_gt_u32_e64 s1, 36, v6
	v_lshrrev_b16 v22, 9, v22
	v_mul_lo_u16 v24, v22, 3
	v_and_b32_e32 v22, 0xffff, v22
	v_sub_nc_u16 v24, v6, v24
	v_mad_u32_u24 v22, v22, 60, 0
	v_mul_u32_u24_sdwa v25, v24, v25 dst_sel:DWORD dst_unused:UNUSED_PAD src0_sel:BYTE_0 src1_sel:DWORD
	v_lshlrev_b32_sdwa v24, v33, v24 dst_sel:DWORD dst_unused:UNUSED_PAD src0_sel:DWORD src1_sel:BYTE_0
	v_lshlrev_b32_e32 v25, 2, v25
	v_add3_u32 v33, v22, v24, v5
	s_clause 0x2
	global_load_dwordx4 v[43:46], v25, s[8:9]
	global_load_dwordx4 v[52:55], v25, s[8:9] offset:16
	global_load_dword v25, v25, s[8:9] offset:32
	ds_read_u16 v38, v16
	ds_read_u16 v39, v15
	ds_read_u16 v48, v14 offset:324
	ds_read_u16 v49, v14 offset:432
	;; [unrolled: 1-line block ×5, first 2 shown]
	ds_read_u16 v36, v17
	ds_read_u16 v58, v14 offset:864
	ds_read_u16 v59, v14 offset:972
	s_waitcnt vmcnt(0) lgkmcnt(0)
	s_barrier
	buffer_gl0_inv
	v_mul_f16_sdwa v37, v38, v43 dst_sel:DWORD dst_unused:UNUSED_PAD src0_sel:DWORD src1_sel:WORD_1
	v_mul_f16_sdwa v22, v35, v43 dst_sel:DWORD dst_unused:UNUSED_PAD src0_sel:DWORD src1_sel:WORD_1
	;; [unrolled: 1-line block ×15, first 2 shown]
	v_fmac_f16_e32 v37, v35, v43
	v_fma_f16 v35, v38, v43, -v22
	v_fmac_f16_e32 v47, v34, v44
	v_fmac_f16_e32 v60, v32, v45
	;; [unrolled: 1-line block ×4, first 2 shown]
	v_fma_f16 v38, v50, v52, -v64
	v_fmac_f16_e32 v42, v29, v53
	v_fmac_f16_e32 v66, v28, v54
	v_fma_f16 v34, v57, v54, -v67
	v_fmac_f16_e32 v51, v27, v55
	v_mul_f16_sdwa v62, v31, v46 dst_sel:DWORD dst_unused:UNUSED_PAD src0_sel:DWORD src1_sel:WORD_1
	v_fma_f16 v41, v39, v44, -v24
	v_fma_f16 v39, v48, v45, -v61
	v_fmac_f16_e32 v69, v26, v25
	v_fma_f16 v26, v59, v25, -v70
	v_mul_f16_sdwa v65, v29, v53 dst_sel:DWORD dst_unused:UNUSED_PAD src0_sel:DWORD src1_sel:WORD_1
	v_mul_f16_sdwa v68, v27, v55 dst_sel:DWORD dst_unused:UNUSED_PAD src0_sel:DWORD src1_sel:WORD_1
	v_add_f16_e32 v24, v40, v42
	v_add_f16_e32 v30, v47, v51
	;; [unrolled: 1-line block ×5, first 2 shown]
	v_fma_f16 v43, v49, v46, -v62
	v_sub_f16_e32 v28, v47, v40
	v_sub_f16_e32 v29, v51, v42
	v_sub_f16_e32 v31, v40, v47
	v_sub_f16_e32 v32, v42, v51
	v_sub_f16_e32 v49, v60, v63
	v_sub_f16_e32 v50, v69, v66
	v_add_f16_e32 v62, v39, v26
	v_fma_f16 v44, v56, v53, -v65
	v_fma_f16 v46, v58, v55, -v68
	v_add_f16_e32 v22, v23, v47
	v_sub_f16_e32 v53, v63, v60
	v_sub_f16_e32 v54, v66, v69
	;; [unrolled: 1-line block ×3, first 2 shown]
	v_fma_f16 v24, -0.5, v24, v23
	v_fmac_f16_e32 v23, -0.5, v30
	v_add_f16_e32 v30, v45, v63
	v_fma_f16 v45, -0.5, v48, v37
	v_fma_f16 v48, -0.5, v57, v35
	v_add_f16_e32 v52, v60, v69
	v_sub_f16_e32 v59, v63, v66
	v_add_f16_e32 v28, v28, v29
	v_add_f16_e32 v29, v31, v32
	;; [unrolled: 1-line block ×3, first 2 shown]
	v_fma_f16 v49, -0.5, v62, v35
	v_sub_f16_e32 v27, v43, v44
	v_sub_f16_e32 v55, v39, v26
	v_sub_f16_e32 v60, v39, v38
	v_sub_f16_e32 v61, v26, v34
	v_add_f16_e32 v22, v22, v40
	v_add_f16_e32 v32, v53, v54
	v_fmamk_f16 v54, v58, 0x3b9c, v48
	v_sub_f16_e32 v25, v41, v46
	v_sub_f16_e32 v56, v38, v34
	;; [unrolled: 1-line block ×4, first 2 shown]
	v_fmac_f16_e32 v37, -0.5, v52
	v_fmamk_f16 v53, v59, 0xbb9c, v49
	v_fmac_f16_e32 v49, 0x3b9c, v59
	v_fmac_f16_e32 v48, 0xbb9c, v58
	v_add_f16_e32 v57, v60, v61
	v_add_f16_e32 v22, v22, v42
	v_fmamk_f16 v62, v27, 0x3b9c, v23
	v_fmac_f16_e32 v23, 0xbb9c, v27
	v_add_f16_e32 v30, v30, v66
	v_fmamk_f16 v50, v55, 0xbb9c, v45
	v_fmac_f16_e32 v54, 0x38b4, v59
	;; [unrolled: 3-line block ×3, first 2 shown]
	v_fmamk_f16 v52, v56, 0x3b9c, v37
	v_fmac_f16_e32 v53, 0x38b4, v58
	v_fmac_f16_e32 v37, 0xbb9c, v56
	;; [unrolled: 1-line block ×5, first 2 shown]
	v_add_f16_e32 v22, v22, v51
	v_fmac_f16_e32 v62, 0xb8b4, v25
	v_fmac_f16_e32 v23, 0x38b4, v25
	v_add_f16_e32 v25, v30, v69
	v_fmac_f16_e32 v50, 0xb8b4, v56
	v_fmac_f16_e32 v54, 0x34f2, v57
	;; [unrolled: 1-line block ×11, first 2 shown]
	v_add_f16_e32 v27, v22, v25
	v_sub_f16_e32 v22, v22, v25
	v_mul_f16_e32 v25, 0xb8b4, v54
	v_fmac_f16_e32 v61, 0x34f2, v28
	v_fmac_f16_e32 v24, 0x34f2, v28
	;; [unrolled: 1-line block ×3, first 2 shown]
	v_mul_f16_e32 v28, 0xbb9c, v53
	v_fmac_f16_e32 v62, 0x34f2, v29
	v_fmac_f16_e32 v23, 0x34f2, v29
	;; [unrolled: 1-line block ×3, first 2 shown]
	v_mul_f16_e32 v29, 0xbb9c, v49
	v_fmac_f16_e32 v45, 0x34f2, v31
	v_mul_f16_e32 v30, 0xb8b4, v48
	v_fmac_f16_e32 v25, 0x3a79, v50
	v_fmac_f16_e32 v28, 0x34f2, v52
	v_fmamk_f16 v29, v37, 0xb4f2, v29
	ds_write_b16 v33, v22 offset:30
	v_fmamk_f16 v30, v45, 0xba79, v30
	v_add_f16_e32 v31, v61, v25
	v_add_f16_e32 v32, v62, v28
	;; [unrolled: 1-line block ×3, first 2 shown]
	v_sub_f16_e32 v22, v61, v25
	v_add_f16_e32 v56, v24, v30
	ds_write_b16 v33, v27
	v_sub_f16_e32 v27, v62, v28
	v_sub_f16_e32 v25, v23, v29
	;; [unrolled: 1-line block ×3, first 2 shown]
	ds_write_b16 v33, v31 offset:6
	ds_write_b16 v33, v32 offset:12
	;; [unrolled: 1-line block ×8, first 2 shown]
	s_waitcnt lgkmcnt(0)
	s_barrier
	buffer_gl0_inv
	ds_read_u16 v23, v17
	ds_read_u16 v32, v14 offset:180
	ds_read_u16 v31, v14 offset:360
	;; [unrolled: 1-line block ×5, first 2 shown]
	s_and_saveexec_b32 s2, s1
	s_cbranch_execz .LBB0_21
; %bb.20:
	ds_read_u16 v22, v16
	ds_read_u16 v27, v14 offset:288
	ds_read_u16 v25, v14 offset:468
	;; [unrolled: 1-line block ×5, first 2 shown]
.LBB0_21:
	s_or_b32 exec_lo, exec_lo, s2
	v_add_f16_e32 v56, v43, v44
	v_add_f16_e32 v57, v41, v46
	v_add_f16_e32 v55, v36, v41
	v_sub_f16_e32 v40, v40, v42
	v_add_f16_e32 v35, v35, v39
	v_fma_f16 v56, -0.5, v56, v36
	v_fmac_f16_e32 v36, -0.5, v57
	v_sub_f16_e32 v47, v47, v51
	v_add_f16_e32 v55, v55, v43
	v_sub_f16_e32 v51, v41, v43
	v_sub_f16_e32 v41, v43, v41
	v_fmamk_f16 v57, v40, 0xbb9c, v36
	v_sub_f16_e32 v43, v44, v46
	v_fmac_f16_e32 v36, 0x3b9c, v40
	v_add_f16_e32 v35, v35, v38
	v_sub_f16_e32 v58, v46, v44
	v_add_f16_e32 v42, v55, v44
	v_fmamk_f16 v55, v47, 0x3b9c, v56
	v_fmac_f16_e32 v57, 0x38b4, v47
	v_add_f16_e32 v39, v41, v43
	v_fmac_f16_e32 v36, 0xb8b4, v47
	v_fmac_f16_e32 v56, 0xbb9c, v47
	v_add_f16_e32 v34, v35, v34
	v_add_f16_e32 v51, v51, v58
	v_fmac_f16_e32 v55, 0x38b4, v40
	v_mul_f16_e32 v35, 0x3a79, v54
	v_mul_f16_e32 v38, 0x34f2, v53
	v_fmac_f16_e32 v57, 0x34f2, v39
	v_fmac_f16_e32 v36, 0x34f2, v39
	v_mul_f16_e32 v39, 0x34f2, v49
	v_fmac_f16_e32 v56, 0xb8b4, v40
	v_mul_f16_e32 v40, 0x3a79, v48
	v_add_f16_e32 v42, v42, v46
	v_add_f16_e32 v26, v34, v26
	v_fmac_f16_e32 v55, 0x34f2, v51
	v_fmac_f16_e32 v35, 0x38b4, v50
	;; [unrolled: 1-line block ×3, first 2 shown]
	v_fma_f16 v34, v37, 0x3b9c, -v39
	v_fmac_f16_e32 v56, 0x34f2, v51
	v_fma_f16 v39, v45, 0x38b4, -v40
	v_add_f16_e32 v40, v42, v26
	v_add_f16_e32 v41, v55, v35
	;; [unrolled: 1-line block ×5, first 2 shown]
	v_sub_f16_e32 v42, v42, v26
	v_sub_f16_e32 v26, v55, v35
	;; [unrolled: 1-line block ×5, first 2 shown]
	s_waitcnt lgkmcnt(0)
	s_barrier
	buffer_gl0_inv
	ds_write_b16 v33, v40
	ds_write_b16 v33, v41 offset:6
	ds_write_b16 v33, v43 offset:12
	;; [unrolled: 1-line block ×9, first 2 shown]
	s_waitcnt lgkmcnt(0)
	s_barrier
	buffer_gl0_inv
	ds_read_u16 v34, v17
	ds_read_u16 v43, v14 offset:180
	ds_read_u16 v42, v14 offset:360
	;; [unrolled: 1-line block ×5, first 2 shown]
	s_and_saveexec_b32 s2, s1
	s_cbranch_execz .LBB0_23
; %bb.22:
	ds_read_u16 v26, v16
	ds_read_u16 v38, v14 offset:288
	ds_read_u16 v37, v14 offset:468
	;; [unrolled: 1-line block ×5, first 2 shown]
.LBB0_23:
	s_or_b32 exec_lo, exec_lo, s2
	v_subrev_nc_u32_e32 v35, 30, v6
	v_cmp_gt_u32_e64 s2, 30, v6
	v_mov_b32_e32 v45, 0
	v_mov_b32_e32 v46, 5
	v_cndmask_b32_e64 v39, v35, v6, s2
	v_and_b32_e32 v35, 0xff, v3
	v_mul_i32_i24_e32 v44, 5, v39
	v_mul_lo_u16 v35, 0x89, v35
	v_lshlrev_b32_e32 v39, 1, v39
	v_lshlrev_b64 v[44:45], 2, v[44:45]
	v_lshrrev_b16 v59, 12, v35
	v_mul_lo_u16 v35, v59, 30
	v_add_co_u32 v44, s2, s8, v44
	v_add_co_ci_u32_e64 v45, s2, s9, v45, s2
	v_sub_nc_u16 v35, v3, v35
	v_cmp_lt_u32_e64 s2, 29, v6
	s_clause 0x1
	global_load_dwordx4 v[50:53], v[44:45], off offset:108
	global_load_dword v58, v[44:45], off offset:124
	v_mul_u32_u24_sdwa v44, v35, v46 dst_sel:DWORD dst_unused:UNUSED_PAD src0_sel:BYTE_0 src1_sel:DWORD
	v_lshlrev_b32_e32 v44, 2, v44
	s_clause 0x1
	global_load_dwordx4 v[54:57], v44, s[8:9] offset:108
	global_load_dword v60, v44, s[8:9] offset:124
	v_cndmask_b32_e64 v44, 0, 0x168, s2
	s_waitcnt vmcnt(0) lgkmcnt(0)
	s_barrier
	buffer_gl0_inv
	v_add_nc_u32_e32 v44, 0, v44
	v_add3_u32 v39, v44, v39, v5
	v_mul_f16_sdwa v44, v43, v50 dst_sel:DWORD dst_unused:UNUSED_PAD src0_sel:DWORD src1_sel:WORD_1
	v_mul_f16_sdwa v45, v42, v51 dst_sel:DWORD dst_unused:UNUSED_PAD src0_sel:DWORD src1_sel:WORD_1
	;; [unrolled: 1-line block ×10, first 2 shown]
	v_fmac_f16_e32 v44, v32, v50
	v_fmac_f16_e32 v45, v31, v51
	v_fma_f16 v51, v42, v51, -v49
	v_fmac_f16_e32 v61, v30, v52
	v_fma_f16 v49, v41, v52, -v62
	v_fmac_f16_e32 v47, v29, v53
	v_mul_f16_sdwa v29, v25, v55 dst_sel:DWORD dst_unused:UNUSED_PAD src0_sel:DWORD src1_sel:WORD_1
	v_mul_f16_sdwa v31, v24, v56 dst_sel:DWORD dst_unused:UNUSED_PAD src0_sel:DWORD src1_sel:WORD_1
	;; [unrolled: 1-line block ×4, first 2 shown]
	v_fma_f16 v48, v43, v50, -v46
	v_fma_f16 v43, v40, v53, -v63
	v_fmac_f16_e32 v64, v28, v58
	v_fma_f16 v46, v33, v58, -v65
	v_mul_f16_sdwa v40, v38, v54 dst_sel:DWORD dst_unused:UNUSED_PAD src0_sel:DWORD src1_sel:WORD_1
	v_mul_f16_sdwa v28, v27, v54 dst_sel:DWORD dst_unused:UNUSED_PAD src0_sel:DWORD src1_sel:WORD_1
	;; [unrolled: 1-line block ×6, first 2 shown]
	v_fma_f16 v50, v37, v55, -v29
	v_fma_f16 v36, v36, v56, -v31
	;; [unrolled: 1-line block ×4, first 2 shown]
	v_add_f16_e32 v53, v23, v45
	v_add_f16_e32 v63, v44, v61
	;; [unrolled: 1-line block ×3, first 2 shown]
	v_fmac_f16_e32 v40, v27, v54
	v_fma_f16 v38, v38, v54, -v28
	v_fmac_f16_e32 v41, v25, v55
	v_fmac_f16_e32 v30, v24, v56
	;; [unrolled: 1-line block ×4, first 2 shown]
	v_add_f16_e32 v32, v36, v21
	v_add_f16_e32 v58, v45, v47
	;; [unrolled: 1-line block ×3, first 2 shown]
	v_sub_f16_e32 v61, v61, v64
	v_add_f16_e32 v18, v53, v47
	v_add_f16_e32 v19, v63, v64
	v_fma_f16 v56, -0.5, v67, v48
	v_add_f16_e32 v25, v41, v42
	v_add_f16_e32 v27, v40, v30
	;; [unrolled: 1-line block ×3, first 2 shown]
	v_sub_f16_e32 v30, v30, v33
	v_fma_f16 v53, -0.5, v32, v38
	v_sub_f16_e32 v66, v49, v46
	v_fmac_f16_e32 v23, -0.5, v58
	v_fmac_f16_e32 v44, -0.5, v65
	v_add_f16_e32 v20, v22, v41
	v_sub_f16_e32 v28, v50, v37
	v_sub_f16_e32 v31, v36, v21
	v_fmamk_f16 v58, v61, 0x3aee, v56
	v_fmac_f16_e32 v56, 0xbaee, v61
	v_add_f16_e32 v54, v18, v19
	v_fmac_f16_e32 v22, -0.5, v25
	v_fmac_f16_e32 v40, -0.5, v29
	v_fmamk_f16 v55, v30, 0x3aee, v53
	v_fmac_f16_e32 v53, 0xbaee, v30
	v_sub_f16_e32 v62, v51, v43
	v_fmamk_f16 v57, v66, 0xbaee, v44
	v_fmac_f16_e32 v44, 0x3aee, v66
	v_sub_f16_e32 v60, v18, v19
	v_add_f16_e32 v24, v20, v42
	v_add_f16_e32 v25, v27, v33
	v_mul_f16_e32 v19, 0xbaee, v58
	v_mul_f16_e32 v20, 0xbaee, v56
	ds_write_b16 v39, v54
	v_fmamk_f16 v27, v28, 0xbaee, v22
	v_fmac_f16_e32 v22, 0x3aee, v28
	v_fmamk_f16 v54, v31, 0xbaee, v40
	v_fmac_f16_e32 v40, 0x3aee, v31
	v_mul_f16_e32 v28, 0xbaee, v55
	v_mul_f16_e32 v29, 0xbaee, v53
	v_fmamk_f16 v52, v62, 0xbaee, v23
	v_fmac_f16_e32 v23, 0x3aee, v62
	v_fmac_f16_e32 v19, 0.5, v57
	v_fmac_f16_e32 v20, -0.5, v44
	v_fmac_f16_e32 v28, 0.5, v54
	v_fmac_f16_e32 v29, -0.5, v40
	v_sub_f16_e32 v18, v24, v25
	v_add_f16_e32 v30, v52, v19
	v_add_f16_e32 v31, v23, v20
	v_sub_f16_e32 v32, v52, v19
	v_sub_f16_e32 v23, v23, v20
	;; [unrolled: 1-line block ×4, first 2 shown]
	v_and_b32_e32 v52, 0xffff, v59
	ds_write_b16 v39, v30 offset:60
	ds_write_b16 v39, v31 offset:120
	;; [unrolled: 1-line block ×5, first 2 shown]
	s_and_saveexec_b32 s2, s1
	s_cbranch_execz .LBB0_25
; %bb.24:
	v_mov_b32_e32 v23, 1
	v_mad_u32_u24 v30, 0x168, v52, 0
	v_add_f16_e32 v24, v24, v25
	v_add_f16_e32 v25, v27, v28
	;; [unrolled: 1-line block ×3, first 2 shown]
	v_lshlrev_b32_sdwa v23, v23, v35 dst_sel:DWORD dst_unused:UNUSED_PAD src0_sel:DWORD src1_sel:BYTE_0
	v_add3_u32 v23, v30, v23, v5
	ds_write_b16 v23, v24
	ds_write_b16 v23, v25 offset:60
	ds_write_b16 v23, v22 offset:120
	;; [unrolled: 1-line block ×5, first 2 shown]
.LBB0_25:
	s_or_b32 exec_lo, exec_lo, s2
	s_waitcnt lgkmcnt(0)
	s_barrier
	buffer_gl0_inv
	ds_read_u16 v24, v17
	ds_read_u16 v25, v16
	ds_read_u16 v29, v14 offset:468
	ds_read_u16 v30, v14 offset:828
	;; [unrolled: 1-line block ×5, first 2 shown]
	ds_read_u16 v28, v15
	ds_read_u16 v33, v14 offset:936
	s_and_saveexec_b32 s2, s0
	s_cbranch_execz .LBB0_27
; %bb.26:
	ds_read_u16 v18, v14 offset:324
	ds_read_u16 v20, v14 offset:684
	;; [unrolled: 1-line block ×3, first 2 shown]
.LBB0_27:
	s_or_b32 exec_lo, exec_lo, s2
	v_add_f16_e32 v22, v51, v43
	v_add_f16_e32 v23, v34, v51
	v_sub_f16_e32 v45, v45, v47
	v_add_f16_e32 v47, v48, v49
	v_add_f16_e32 v49, v26, v50
	v_fmac_f16_e32 v34, -0.5, v22
	v_mul_f16_e32 v22, -0.5, v56
	v_add_f16_e32 v23, v23, v43
	v_add_f16_e32 v43, v47, v46
	v_mul_f16_e32 v48, 0.5, v58
	v_fmamk_f16 v46, v45, 0x3aee, v34
	v_fmac_f16_e32 v22, 0x3aee, v44
	v_add_f16_e32 v44, v50, v37
	v_fmac_f16_e32 v34, 0xbaee, v45
	v_add_f16_e32 v45, v23, v43
	v_sub_f16_e32 v43, v23, v43
	v_sub_f16_e32 v23, v41, v42
	v_fmac_f16_e32 v26, -0.5, v44
	v_add_f16_e32 v42, v38, v36
	v_mul_f16_e32 v36, 0.5, v55
	v_mul_f16_e32 v38, -0.5, v53
	v_add_f16_e32 v37, v49, v37
	v_fmamk_f16 v41, v23, 0x3aee, v26
	v_fmac_f16_e32 v26, 0xbaee, v23
	v_add_f16_e32 v42, v42, v21
	v_fmac_f16_e32 v36, 0x3aee, v54
	v_fmac_f16_e32 v38, 0x3aee, v40
	;; [unrolled: 1-line block ×3, first 2 shown]
	v_add_f16_e32 v50, v34, v22
	v_sub_f16_e32 v34, v34, v22
	v_sub_f16_e32 v21, v37, v42
	;; [unrolled: 1-line block ×4, first 2 shown]
	v_add_f16_e32 v47, v46, v48
	v_sub_f16_e32 v40, v46, v48
	s_waitcnt lgkmcnt(0)
	s_barrier
	buffer_gl0_inv
	ds_write_b16 v39, v45
	ds_write_b16 v39, v47 offset:60
	ds_write_b16 v39, v50 offset:120
	ds_write_b16 v39, v43 offset:180
	ds_write_b16 v39, v40 offset:240
	ds_write_b16 v39, v34 offset:300
	s_and_saveexec_b32 s2, s1
	s_cbranch_execz .LBB0_29
; %bb.28:
	v_mov_b32_e32 v34, 1
	v_mad_u32_u24 v39, 0x168, v52, 0
	v_add_f16_e32 v26, v26, v38
	v_lshlrev_b32_sdwa v34, v34, v35 dst_sel:DWORD dst_unused:UNUSED_PAD src0_sel:DWORD src1_sel:BYTE_0
	v_add_f16_e32 v35, v37, v42
	v_add3_u32 v5, v39, v34, v5
	v_add_f16_e32 v34, v41, v36
	ds_write_b16 v5, v35
	ds_write_b16 v5, v34 offset:60
	ds_write_b16 v5, v26 offset:120
	;; [unrolled: 1-line block ×5, first 2 shown]
.LBB0_29:
	s_or_b32 exec_lo, exec_lo, s2
	s_waitcnt lgkmcnt(0)
	s_barrier
	buffer_gl0_inv
	ds_read_u16 v17, v17
	ds_read_u16 v16, v16
	ds_read_u16 v34, v14 offset:468
	ds_read_u16 v35, v14 offset:828
	;; [unrolled: 1-line block ×5, first 2 shown]
	ds_read_u16 v15, v15
	ds_read_u16 v38, v14 offset:936
	s_and_saveexec_b32 s1, s0
	s_cbranch_execz .LBB0_31
; %bb.30:
	ds_read_u16 v21, v14 offset:324
	ds_read_u16 v23, v14 offset:684
	;; [unrolled: 1-line block ×3, first 2 shown]
.LBB0_31:
	s_or_b32 exec_lo, exec_lo, s1
	s_and_saveexec_b32 s1, vcc_lo
	s_cbranch_execz .LBB0_34
; %bb.32:
	v_lshlrev_b32_e32 v4, 1, v4
	v_mov_b32_e32 v5, 0
	v_mad_u64_u32 v[43:44], null, s12, v6, 0
	v_mad_u64_u32 v[45:46], null, s12, v11, 0
	v_lshlrev_b64 v[39:40], 2, v[4:5]
	v_lshlrev_b32_e32 v4, 1, v3
	v_mov_b32_e32 v3, v5
	v_mad_u64_u32 v[47:48], null, s12, v12, 0
	v_mad_u64_u32 v[49:50], null, s12, v9, 0
	v_lshlrev_b64 v[41:42], 2, v[4:5]
	v_add_co_u32 v39, vcc_lo, s8, v39
	v_lshlrev_b64 v[2:3], 2, v[2:3]
	v_add_co_ci_u32_e32 v40, vcc_lo, s9, v40, vcc_lo
	v_add_co_u32 v41, vcc_lo, s8, v41
	v_add_co_ci_u32_e32 v42, vcc_lo, s9, v42, vcc_lo
	v_add_co_u32 v2, vcc_lo, s8, v2
	global_load_dwordx2 v[39:40], v[39:40], off offset:708
	v_add_co_ci_u32_e32 v3, vcc_lo, s9, v3, vcc_lo
	s_clause 0x1
	global_load_dwordx2 v[41:42], v[41:42], off offset:708
	global_load_dwordx2 v[2:3], v[2:3], off offset:708
	v_lshrrev_b32_e32 v4, 2, v7
	v_mad_u64_u32 v[51:52], null, s12, v8, 0
	v_mad_u64_u32 v[53:54], null, s12, v10, 0
	v_mul_hi_u32 v58, 0x16c16c17, v4
	v_mov_b32_e32 v4, v44
	v_mov_b32_e32 v14, v46
	;; [unrolled: 1-line block ×6, first 2 shown]
	v_mad_u64_u32 v[54:55], null, s13, v6, v[4:5]
	v_lshrrev_b32_e32 v4, 2, v58
	s_waitcnt lgkmcnt(1)
	v_mad_u64_u32 v[55:56], null, s13, v11, v[14:15]
	v_mad_u64_u32 v[11:12], null, s13, v12, v[44:45]
	;; [unrolled: 1-line block ×4, first 2 shown]
	v_mad_u32_u24 v14, 0x168, v4, v7
	v_mad_u64_u32 v[9:10], null, s13, v10, v[50:51]
	v_mov_b32_e32 v44, v54
	v_mov_b32_e32 v48, v11
	v_add_nc_u32_e32 v57, 0xb4, v14
	v_mov_b32_e32 v52, v8
	v_mad_u64_u32 v[7:8], null, s12, v14, 0
	v_mov_b32_e32 v46, v55
	v_mov_b32_e32 v50, v56
	;; [unrolled: 1-line block ×3, first 2 shown]
	v_add_nc_u32_e32 v58, 0x168, v14
	v_lshlrev_b64 v[9:10], 2, v[43:44]
	v_lshlrev_b64 v[43:44], 2, v[47:48]
	;; [unrolled: 1-line block ×3, first 2 shown]
	v_mad_u64_u32 v[51:52], null, s12, v57, 0
	v_mov_b32_e32 v4, v8
	v_lshlrev_b64 v[11:12], 2, v[45:46]
	v_lshlrev_b64 v[45:46], 2, v[49:50]
	;; [unrolled: 1-line block ×3, first 2 shown]
	v_mad_u64_u32 v[53:54], null, s12, v58, 0
	v_add_co_u32 v0, vcc_lo, s14, v0
	v_mad_u64_u32 v[55:56], null, s13, v14, v[4:5]
	v_mov_b32_e32 v4, v52
	v_add_co_ci_u32_e32 v1, vcc_lo, s15, v1, vcc_lo
	v_add_co_u32 v9, vcc_lo, v0, v9
	v_mov_b32_e32 v8, v54
	v_mad_u64_u32 v[56:57], null, s13, v57, v[4:5]
	v_add_co_ci_u32_e32 v10, vcc_lo, v1, v10, vcc_lo
	v_mad_u64_u32 v[57:58], null, s13, v58, v[8:9]
	v_mov_b32_e32 v8, v55
	v_add_co_u32 v11, vcc_lo, v0, v11
	v_mov_b32_e32 v52, v56
	v_add_co_ci_u32_e32 v12, vcc_lo, v1, v12, vcc_lo
	v_mov_b32_e32 v54, v57
	v_add_co_u32 v43, vcc_lo, v0, v43
	v_add_co_ci_u32_e32 v44, vcc_lo, v1, v44, vcc_lo
	v_add_co_u32 v45, vcc_lo, v0, v45
	v_add_co_ci_u32_e32 v46, vcc_lo, v1, v46, vcc_lo
	v_add_co_u32 v47, vcc_lo, v0, v47
	v_lshlrev_b64 v[7:8], 2, v[7:8]
	v_add_co_ci_u32_e32 v48, vcc_lo, v1, v48, vcc_lo
	v_add_co_u32 v49, vcc_lo, v0, v49
	v_lshlrev_b64 v[51:52], 2, v[51:52]
	v_add_co_ci_u32_e32 v50, vcc_lo, v1, v50, vcc_lo
	v_lshlrev_b64 v[53:54], 2, v[53:54]
	v_add_co_u32 v7, vcc_lo, v0, v7
	v_add_co_ci_u32_e32 v8, vcc_lo, v1, v8, vcc_lo
	v_add_co_u32 v51, vcc_lo, v0, v51
	v_add_co_ci_u32_e32 v52, vcc_lo, v1, v52, vcc_lo
	;; [unrolled: 2-line block ×3, first 2 shown]
	s_waitcnt vmcnt(2)
	v_mul_f16_sdwa v4, v32, v39 dst_sel:DWORD dst_unused:UNUSED_PAD src0_sel:DWORD src1_sel:WORD_1
	v_mul_f16_sdwa v14, v33, v40 dst_sel:DWORD dst_unused:UNUSED_PAD src0_sel:DWORD src1_sel:WORD_1
	;; [unrolled: 1-line block ×3, first 2 shown]
	s_waitcnt lgkmcnt(0)
	v_mul_f16_sdwa v56, v38, v40 dst_sel:DWORD dst_unused:UNUSED_PAD src0_sel:DWORD src1_sel:WORD_1
	v_fma_f16 v4, v37, v39, -v4
	v_fma_f16 v14, v38, v40, -v14
	v_fmac_f16_e32 v55, v32, v39
	v_fmac_f16_e32 v56, v33, v40
	s_waitcnt vmcnt(1)
	v_mul_f16_sdwa v32, v29, v41 dst_sel:DWORD dst_unused:UNUSED_PAD src0_sel:DWORD src1_sel:WORD_1
	v_mul_f16_sdwa v33, v30, v42 dst_sel:DWORD dst_unused:UNUSED_PAD src0_sel:DWORD src1_sel:WORD_1
	;; [unrolled: 1-line block ×4, first 2 shown]
	s_waitcnt vmcnt(0)
	v_mul_f16_sdwa v39, v31, v2 dst_sel:DWORD dst_unused:UNUSED_PAD src0_sel:DWORD src1_sel:WORD_1
	v_mul_f16_sdwa v40, v27, v3 dst_sel:DWORD dst_unused:UNUSED_PAD src0_sel:DWORD src1_sel:WORD_1
	v_mul_f16_sdwa v57, v36, v2 dst_sel:DWORD dst_unused:UNUSED_PAD src0_sel:DWORD src1_sel:WORD_1
	v_mul_f16_sdwa v58, v26, v3 dst_sel:DWORD dst_unused:UNUSED_PAD src0_sel:DWORD src1_sel:WORD_1
	v_add_f16_e32 v61, v15, v4
	v_add_f16_e32 v62, v55, v56
	v_fma_f16 v32, v34, v41, -v32
	v_fma_f16 v33, v35, v42, -v33
	v_fmac_f16_e32 v37, v29, v41
	v_fmac_f16_e32 v38, v30, v42
	v_fma_f16 v29, v36, v2, -v39
	v_fma_f16 v26, v26, v3, -v40
	v_fmac_f16_e32 v57, v31, v2
	v_fmac_f16_e32 v58, v27, v3
	v_add_f16_e32 v59, v4, v14
	v_sub_f16_e32 v60, v55, v56
	v_sub_f16_e32 v4, v4, v14
	v_add_f16_e32 v55, v28, v55
	v_add_f16_e32 v3, v61, v14
	v_fma_f16 v14, -0.5, v62, v28
	v_add_f16_e32 v27, v32, v33
	v_add_f16_e32 v31, v37, v38
	;; [unrolled: 1-line block ×4, first 2 shown]
	v_sub_f16_e32 v28, v37, v38
	v_add_f16_e32 v30, v16, v32
	v_add_f16_e32 v34, v25, v37
	;; [unrolled: 1-line block ×4, first 2 shown]
	v_fma_f16 v2, -0.5, v59, v15
	v_add_f16_e32 v15, v55, v56
	v_sub_f16_e32 v32, v32, v33
	v_sub_f16_e32 v36, v57, v58
	;; [unrolled: 1-line block ×3, first 2 shown]
	v_fmamk_f16 v42, v4, 0x3aee, v14
	v_fmac_f16_e32 v14, 0xbaee, v4
	v_fma_f16 v4, -0.5, v27, v16
	v_fma_f16 v25, -0.5, v31, v25
	;; [unrolled: 1-line block ×4, first 2 shown]
	v_add_f16_e32 v16, v30, v33
	v_add_f16_e32 v26, v37, v26
	;; [unrolled: 1-line block ×3, first 2 shown]
	v_pack_b32_f16 v3, v15, v3
	v_fmamk_f16 v15, v28, 0xbaee, v4
	v_fmac_f16_e32 v4, 0x3aee, v28
	v_fmamk_f16 v28, v32, 0x3aee, v25
	v_fmac_f16_e32 v25, 0xbaee, v32
	;; [unrolled: 2-line block ×4, first 2 shown]
	v_add_f16_e32 v27, v34, v38
	v_pack_b32_f16 v26, v30, v26
	v_fmamk_f16 v41, v60, 0xbaee, v2
	v_fmac_f16_e32 v2, 0x3aee, v60
	v_pack_b32_f16 v17, v24, v17
	v_pack_b32_f16 v24, v32, v31
	;; [unrolled: 1-line block ×4, first 2 shown]
	global_store_dword v[9:10], v26, off
	v_pack_b32_f16 v9, v28, v15
	v_pack_b32_f16 v2, v14, v2
	;; [unrolled: 1-line block ×3, first 2 shown]
	global_store_dword v[11:12], v17, off
	global_store_dword v[43:44], v24, off
	;; [unrolled: 1-line block ×8, first 2 shown]
	s_and_b32 exec_lo, exec_lo, s0
	s_cbranch_execz .LBB0_34
; %bb.33:
	v_subrev_nc_u32_e32 v2, 18, v6
	v_add_nc_u32_e32 v12, 0x156, v6
	v_add_nc_u32_e32 v14, 0x20a, v6
	v_cndmask_b32_e64 v2, v2, v13, s0
	v_mad_u64_u32 v[6:7], null, s12, v12, 0
	v_mad_u64_u32 v[8:9], null, s12, v14, 0
	v_lshlrev_b32_e32 v4, 1, v2
	v_lshlrev_b64 v[2:3], 2, v[4:5]
	v_mad_u64_u32 v[4:5], null, s12, v13, 0
	v_add_co_u32 v2, vcc_lo, s8, v2
	v_add_co_ci_u32_e32 v3, vcc_lo, s9, v3, vcc_lo
	v_mad_u64_u32 v[10:11], null, s13, v13, v[5:6]
	v_mad_u64_u32 v[11:12], null, s13, v12, v[7:8]
	global_load_dwordx2 v[2:3], v[2:3], off offset:708
	v_mad_u64_u32 v[12:13], null, s13, v14, v[9:10]
	v_mov_b32_e32 v5, v10
	v_mov_b32_e32 v7, v11
	v_lshlrev_b64 v[4:5], 2, v[4:5]
	v_mov_b32_e32 v9, v12
	v_lshlrev_b64 v[6:7], 2, v[6:7]
	v_add_co_u32 v4, vcc_lo, v0, v4
	v_add_co_ci_u32_e32 v5, vcc_lo, v1, v5, vcc_lo
	v_lshlrev_b64 v[8:9], 2, v[8:9]
	s_waitcnt vmcnt(0)
	v_mul_f16_sdwa v10, v23, v2 dst_sel:DWORD dst_unused:UNUSED_PAD src0_sel:DWORD src1_sel:WORD_1
	v_mul_f16_sdwa v11, v20, v2 dst_sel:DWORD dst_unused:UNUSED_PAD src0_sel:DWORD src1_sel:WORD_1
	;; [unrolled: 1-line block ×4, first 2 shown]
	v_fmac_f16_e32 v10, v20, v2
	v_fma_f16 v11, v23, v2, -v11
	v_fmac_f16_e32 v12, v19, v3
	v_fma_f16 v13, v22, v3, -v13
	v_add_co_u32 v2, vcc_lo, v0, v6
	v_add_co_ci_u32_e32 v3, vcc_lo, v1, v7, vcc_lo
	v_add_f16_e32 v6, v10, v12
	v_add_f16_e32 v14, v11, v13
	;; [unrolled: 1-line block ×3, first 2 shown]
	v_sub_f16_e32 v15, v11, v13
	v_add_f16_e32 v11, v21, v11
	v_fmac_f16_e32 v18, -0.5, v6
	v_sub_f16_e32 v6, v10, v12
	v_fmac_f16_e32 v21, -0.5, v14
	v_add_f16_e32 v7, v7, v12
	v_add_f16_e32 v10, v11, v13
	v_fmamk_f16 v11, v15, 0xbaee, v18
	v_fmac_f16_e32 v18, 0x3aee, v15
	v_fmamk_f16 v12, v6, 0x3aee, v21
	v_fmac_f16_e32 v21, 0xbaee, v6
	v_add_co_u32 v0, vcc_lo, v0, v8
	v_pack_b32_f16 v6, v7, v10
	v_pack_b32_f16 v7, v11, v12
	v_add_co_ci_u32_e32 v1, vcc_lo, v1, v9, vcc_lo
	v_pack_b32_f16 v8, v18, v21
	global_store_dword v[4:5], v6, off
	global_store_dword v[2:3], v7, off
	;; [unrolled: 1-line block ×3, first 2 shown]
.LBB0_34:
	s_endpgm
	.section	.rodata,"a",@progbits
	.p2align	6, 0x0
	.amdhsa_kernel fft_rtc_back_len540_factors_3_10_6_3_wgs_216_tpt_54_halfLds_half_ip_CI_sbrr_dirReg
		.amdhsa_group_segment_fixed_size 0
		.amdhsa_private_segment_fixed_size 0
		.amdhsa_kernarg_size 88
		.amdhsa_user_sgpr_count 6
		.amdhsa_user_sgpr_private_segment_buffer 1
		.amdhsa_user_sgpr_dispatch_ptr 0
		.amdhsa_user_sgpr_queue_ptr 0
		.amdhsa_user_sgpr_kernarg_segment_ptr 1
		.amdhsa_user_sgpr_dispatch_id 0
		.amdhsa_user_sgpr_flat_scratch_init 0
		.amdhsa_user_sgpr_private_segment_size 0
		.amdhsa_wavefront_size32 1
		.amdhsa_uses_dynamic_stack 0
		.amdhsa_system_sgpr_private_segment_wavefront_offset 0
		.amdhsa_system_sgpr_workgroup_id_x 1
		.amdhsa_system_sgpr_workgroup_id_y 0
		.amdhsa_system_sgpr_workgroup_id_z 0
		.amdhsa_system_sgpr_workgroup_info 0
		.amdhsa_system_vgpr_workitem_id 0
		.amdhsa_next_free_vgpr 71
		.amdhsa_next_free_sgpr 23
		.amdhsa_reserve_vcc 1
		.amdhsa_reserve_flat_scratch 0
		.amdhsa_float_round_mode_32 0
		.amdhsa_float_round_mode_16_64 0
		.amdhsa_float_denorm_mode_32 3
		.amdhsa_float_denorm_mode_16_64 3
		.amdhsa_dx10_clamp 1
		.amdhsa_ieee_mode 1
		.amdhsa_fp16_overflow 0
		.amdhsa_workgroup_processor_mode 1
		.amdhsa_memory_ordered 1
		.amdhsa_forward_progress 0
		.amdhsa_shared_vgpr_count 0
		.amdhsa_exception_fp_ieee_invalid_op 0
		.amdhsa_exception_fp_denorm_src 0
		.amdhsa_exception_fp_ieee_div_zero 0
		.amdhsa_exception_fp_ieee_overflow 0
		.amdhsa_exception_fp_ieee_underflow 0
		.amdhsa_exception_fp_ieee_inexact 0
		.amdhsa_exception_int_div_zero 0
	.end_amdhsa_kernel
	.text
.Lfunc_end0:
	.size	fft_rtc_back_len540_factors_3_10_6_3_wgs_216_tpt_54_halfLds_half_ip_CI_sbrr_dirReg, .Lfunc_end0-fft_rtc_back_len540_factors_3_10_6_3_wgs_216_tpt_54_halfLds_half_ip_CI_sbrr_dirReg
                                        ; -- End function
	.section	.AMDGPU.csdata,"",@progbits
; Kernel info:
; codeLenInByte = 7676
; NumSgprs: 25
; NumVgprs: 71
; ScratchSize: 0
; MemoryBound: 0
; FloatMode: 240
; IeeeMode: 1
; LDSByteSize: 0 bytes/workgroup (compile time only)
; SGPRBlocks: 3
; VGPRBlocks: 8
; NumSGPRsForWavesPerEU: 25
; NumVGPRsForWavesPerEU: 71
; Occupancy: 12
; WaveLimiterHint : 1
; COMPUTE_PGM_RSRC2:SCRATCH_EN: 0
; COMPUTE_PGM_RSRC2:USER_SGPR: 6
; COMPUTE_PGM_RSRC2:TRAP_HANDLER: 0
; COMPUTE_PGM_RSRC2:TGID_X_EN: 1
; COMPUTE_PGM_RSRC2:TGID_Y_EN: 0
; COMPUTE_PGM_RSRC2:TGID_Z_EN: 0
; COMPUTE_PGM_RSRC2:TIDIG_COMP_CNT: 0
	.text
	.p2alignl 6, 3214868480
	.fill 48, 4, 3214868480
	.type	__hip_cuid_288fd2e5efc8b265,@object ; @__hip_cuid_288fd2e5efc8b265
	.section	.bss,"aw",@nobits
	.globl	__hip_cuid_288fd2e5efc8b265
__hip_cuid_288fd2e5efc8b265:
	.byte	0                               ; 0x0
	.size	__hip_cuid_288fd2e5efc8b265, 1

	.ident	"AMD clang version 19.0.0git (https://github.com/RadeonOpenCompute/llvm-project roc-6.4.0 25133 c7fe45cf4b819c5991fe208aaa96edf142730f1d)"
	.section	".note.GNU-stack","",@progbits
	.addrsig
	.addrsig_sym __hip_cuid_288fd2e5efc8b265
	.amdgpu_metadata
---
amdhsa.kernels:
  - .args:
      - .actual_access:  read_only
        .address_space:  global
        .offset:         0
        .size:           8
        .value_kind:     global_buffer
      - .offset:         8
        .size:           8
        .value_kind:     by_value
      - .actual_access:  read_only
        .address_space:  global
        .offset:         16
        .size:           8
        .value_kind:     global_buffer
      - .actual_access:  read_only
        .address_space:  global
        .offset:         24
        .size:           8
        .value_kind:     global_buffer
      - .offset:         32
        .size:           8
        .value_kind:     by_value
      - .actual_access:  read_only
        .address_space:  global
        .offset:         40
        .size:           8
        .value_kind:     global_buffer
      - .actual_access:  read_only
        .address_space:  global
        .offset:         48
        .size:           8
        .value_kind:     global_buffer
      - .offset:         56
        .size:           4
        .value_kind:     by_value
      - .actual_access:  read_only
        .address_space:  global
        .offset:         64
        .size:           8
        .value_kind:     global_buffer
      - .actual_access:  read_only
        .address_space:  global
        .offset:         72
        .size:           8
        .value_kind:     global_buffer
      - .address_space:  global
        .offset:         80
        .size:           8
        .value_kind:     global_buffer
    .group_segment_fixed_size: 0
    .kernarg_segment_align: 8
    .kernarg_segment_size: 88
    .language:       OpenCL C
    .language_version:
      - 2
      - 0
    .max_flat_workgroup_size: 216
    .name:           fft_rtc_back_len540_factors_3_10_6_3_wgs_216_tpt_54_halfLds_half_ip_CI_sbrr_dirReg
    .private_segment_fixed_size: 0
    .sgpr_count:     25
    .sgpr_spill_count: 0
    .symbol:         fft_rtc_back_len540_factors_3_10_6_3_wgs_216_tpt_54_halfLds_half_ip_CI_sbrr_dirReg.kd
    .uniform_work_group_size: 1
    .uses_dynamic_stack: false
    .vgpr_count:     71
    .vgpr_spill_count: 0
    .wavefront_size: 32
    .workgroup_processor_mode: 1
amdhsa.target:   amdgcn-amd-amdhsa--gfx1030
amdhsa.version:
  - 1
  - 2
...

	.end_amdgpu_metadata
